;; amdgpu-corpus repo=ROCm/rocFFT kind=compiled arch=gfx906 opt=O3
	.text
	.amdgcn_target "amdgcn-amd-amdhsa--gfx906"
	.amdhsa_code_object_version 6
	.protected	bluestein_single_back_len54_dim1_dp_op_CI_CI ; -- Begin function bluestein_single_back_len54_dim1_dp_op_CI_CI
	.globl	bluestein_single_back_len54_dim1_dp_op_CI_CI
	.p2align	8
	.type	bluestein_single_back_len54_dim1_dp_op_CI_CI,@function
bluestein_single_back_len54_dim1_dp_op_CI_CI: ; @bluestein_single_back_len54_dim1_dp_op_CI_CI
; %bb.0:
	v_mul_u32_u24_e32 v1, 0xe39, v0
	s_load_dwordx4 s[0:3], s[4:5], 0x28
	v_lshrrev_b32_e32 v1, 16, v1
	v_mad_u64_u32 v[40:41], s[6:7], s6, 14, v[1:2]
	v_mov_b32_e32 v41, 0
	s_waitcnt lgkmcnt(0)
	v_cmp_gt_u64_e32 vcc, s[0:1], v[40:41]
	s_and_saveexec_b64 s[0:1], vcc
	s_cbranch_execz .LBB0_15
; %bb.1:
	v_lshrrev_b32_e32 v2, 1, v40
	s_mov_b32 s0, 0x92492493
	v_mul_hi_u32 v2, v2, s0
	s_load_dwordx2 s[12:13], s[4:5], 0x0
	s_load_dwordx2 s[6:7], s[4:5], 0x38
	v_mul_lo_u16_e32 v1, 18, v1
	v_sub_u16_e32 v41, v0, v1
	v_lshrrev_b32_e32 v2, 2, v2
	v_mul_lo_u32 v2, v2, 14
	v_cmp_gt_u16_e32 vcc, 9, v41
	v_lshlrev_b32_e32 v43, 4, v41
	v_sub_u32_e32 v0, v40, v2
	v_mul_u32_u24_e32 v42, 54, v0
	v_lshlrev_b32_e32 v44, 4, v42
	s_and_saveexec_b64 s[14:15], vcc
	s_cbranch_execz .LBB0_3
; %bb.2:
	s_load_dwordx2 s[0:1], s[4:5], 0x18
	s_waitcnt lgkmcnt(0)
	s_load_dwordx4 s[8:11], s[0:1], 0x0
	s_waitcnt lgkmcnt(0)
	v_mad_u64_u32 v[0:1], s[0:1], s10, v40, 0
	v_mad_u64_u32 v[2:3], s[0:1], s8, v41, 0
	;; [unrolled: 1-line block ×4, first 2 shown]
	v_mov_b32_e32 v1, v4
	v_lshlrev_b64 v[0:1], 4, v[0:1]
	v_mov_b32_e32 v3, v5
	v_mov_b32_e32 v6, s3
	v_lshlrev_b64 v[2:3], 4, v[2:3]
	v_add_co_u32_e64 v0, s[0:1], s2, v0
	v_addc_co_u32_e64 v1, s[0:1], v6, v1, s[0:1]
	v_add_co_u32_e64 v24, s[0:1], v0, v2
	v_addc_co_u32_e64 v25, s[0:1], v1, v3, s[0:1]
	s_mul_i32 s0, s9, 0x90
	s_mul_hi_u32 s1, s8, 0x90
	s_mul_i32 s2, s8, 0x90
	s_add_i32 s3, s1, s0
	v_mov_b32_e32 v16, s3
	v_add_co_u32_e64 v26, s[0:1], s2, v24
	v_addc_co_u32_e64 v27, s[0:1], v25, v16, s[0:1]
	v_mov_b32_e32 v28, s3
	v_add_co_u32_e64 v32, s[0:1], s2, v26
	v_addc_co_u32_e64 v33, s[0:1], v27, v28, s[0:1]
	;; [unrolled: 3-line block ×3, first 2 shown]
	global_load_dwordx4 v[0:3], v43, s[12:13]
	global_load_dwordx4 v[4:7], v43, s[12:13] offset:144
	global_load_dwordx4 v[8:11], v43, s[12:13] offset:288
	global_load_dwordx4 v[12:15], v43, s[12:13] offset:432
	global_load_dwordx4 v[16:19], v[24:25], off
	global_load_dwordx4 v[20:23], v[26:27], off
	s_nop 0
	global_load_dwordx4 v[24:27], v[32:33], off
	global_load_dwordx4 v[28:31], v[34:35], off
	v_mov_b32_e32 v32, s3
	v_add_co_u32_e64 v49, s[0:1], s2, v34
	v_addc_co_u32_e64 v50, s[0:1], v35, v32, s[0:1]
	global_load_dwordx4 v[32:35], v[49:50], off
	global_load_dwordx4 v[36:39], v43, s[12:13] offset:576
	global_load_dwordx4 v[45:48], v43, s[12:13] offset:720
	v_mov_b32_e32 v51, s3
	v_add_co_u32_e64 v49, s[0:1], s2, v49
	v_addc_co_u32_e64 v50, s[0:1], v50, v51, s[0:1]
	global_load_dwordx4 v[49:52], v[49:50], off
	s_waitcnt vmcnt(7)
	v_mul_f64 v[53:54], v[18:19], v[2:3]
	v_mul_f64 v[2:3], v[16:17], v[2:3]
	s_waitcnt vmcnt(6)
	v_mul_f64 v[55:56], v[22:23], v[6:7]
	v_mul_f64 v[6:7], v[20:21], v[6:7]
	s_waitcnt vmcnt(5)
	v_mul_f64 v[57:58], v[26:27], v[10:11]
	v_mul_f64 v[10:11], v[24:25], v[10:11]
	s_waitcnt vmcnt(4)
	v_mul_f64 v[59:60], v[30:31], v[14:15]
	v_mul_f64 v[61:62], v[28:29], v[14:15]
	s_waitcnt vmcnt(2)
	v_mul_f64 v[63:64], v[34:35], v[38:39]
	v_mul_f64 v[38:39], v[32:33], v[38:39]
	v_fma_f64 v[14:15], v[16:17], v[0:1], v[53:54]
	v_fma_f64 v[16:17], v[18:19], v[0:1], -v[2:3]
	v_fma_f64 v[0:1], v[20:21], v[4:5], v[55:56]
	v_fma_f64 v[2:3], v[22:23], v[4:5], -v[6:7]
	s_waitcnt vmcnt(0)
	v_mul_f64 v[65:66], v[51:52], v[47:48]
	v_mul_f64 v[47:48], v[49:50], v[47:48]
	v_fma_f64 v[4:5], v[24:25], v[8:9], v[57:58]
	v_fma_f64 v[6:7], v[26:27], v[8:9], -v[10:11]
	v_fma_f64 v[8:9], v[28:29], v[12:13], v[59:60]
	v_fma_f64 v[10:11], v[30:31], v[12:13], -v[61:62]
	;; [unrolled: 2-line block ×4, first 2 shown]
	v_lshl_add_u32 v12, v41, 4, v44
	ds_write_b128 v12, v[14:17]
	v_add_u32_e32 v12, v44, v43
	ds_write_b128 v12, v[0:3] offset:144
	ds_write_b128 v12, v[4:7] offset:288
	;; [unrolled: 1-line block ×5, first 2 shown]
.LBB0_3:
	s_or_b64 exec, exec, s[14:15]
	s_load_dwordx2 s[0:1], s[4:5], 0x20
	s_load_dwordx2 s[8:9], s[4:5], 0x8
	s_waitcnt lgkmcnt(0)
	s_barrier
	s_waitcnt lgkmcnt(0)
                                        ; implicit-def: $vgpr0_vgpr1
                                        ; implicit-def: $vgpr4_vgpr5
                                        ; implicit-def: $vgpr8_vgpr9
                                        ; implicit-def: $vgpr12_vgpr13
                                        ; implicit-def: $vgpr20_vgpr21
                                        ; implicit-def: $vgpr16_vgpr17
	s_and_saveexec_b64 s[2:3], vcc
	s_cbranch_execz .LBB0_5
; %bb.4:
	v_lshl_add_u32 v16, v42, 4, v43
	ds_read_b128 v[0:3], v16
	ds_read_b128 v[4:7], v16 offset:144
	ds_read_b128 v[8:11], v16 offset:288
	;; [unrolled: 1-line block ×5, first 2 shown]
.LBB0_5:
	s_or_b64 exec, exec, s[2:3]
	s_waitcnt lgkmcnt(1)
	v_add_f64 v[24:25], v[8:9], v[20:21]
	s_waitcnt lgkmcnt(0)
	v_add_f64 v[30:31], v[14:15], v[18:19]
	v_add_f64 v[32:33], v[12:13], v[16:17]
	;; [unrolled: 1-line block ×3, first 2 shown]
	v_add_f64 v[28:29], v[10:11], -v[22:23]
	v_add_f64 v[34:35], v[10:11], v[22:23]
	v_add_f64 v[36:37], v[14:15], -v[18:19]
	v_add_f64 v[38:39], v[12:13], -v[16:17]
	v_fma_f64 v[24:25], v[24:25], -0.5, v[0:1]
	v_fma_f64 v[30:31], v[30:31], -0.5, v[6:7]
	;; [unrolled: 1-line block ×3, first 2 shown]
	s_mov_b32 s4, 0xe8584caa
	s_mov_b32 s5, 0x3febb67a
	;; [unrolled: 1-line block ×4, first 2 shown]
	v_add_f64 v[10:11], v[2:3], v[10:11]
	v_fma_f64 v[0:1], v[28:29], s[4:5], v[24:25]
	v_fma_f64 v[28:29], v[28:29], s[10:11], v[24:25]
	v_fma_f64 v[24:25], v[34:35], -0.5, v[2:3]
	v_fma_f64 v[34:35], v[38:39], s[10:11], v[30:31]
	v_fma_f64 v[45:46], v[36:37], s[10:11], v[32:33]
	v_add_f64 v[2:3], v[26:27], v[20:21]
	v_fma_f64 v[26:27], v[36:37], s[4:5], v[32:33]
	v_fma_f64 v[36:37], v[38:39], s[4:5], v[30:31]
	v_add_f64 v[8:9], v[8:9], -v[20:21]
	v_add_f64 v[30:31], v[10:11], v[22:23]
	v_add_f64 v[4:5], v[4:5], v[12:13]
	v_mul_f64 v[10:11], v[34:35], s[4:5]
	v_mul_f64 v[12:13], v[45:46], -0.5
	v_add_f64 v[20:21], v[6:7], v[14:15]
	v_mul_f64 v[22:23], v[26:27], s[10:11]
	v_mul_f64 v[38:39], v[36:37], -0.5
	v_fma_f64 v[14:15], v[8:9], s[10:11], v[24:25]
	v_fma_f64 v[32:33], v[8:9], s[4:5], v[24:25]
	v_add_f64 v[4:5], v[4:5], v[16:17]
	v_fma_f64 v[6:7], v[26:27], 0.5, v[10:11]
	v_fma_f64 v[12:13], v[36:37], s[4:5], v[12:13]
	v_add_f64 v[16:17], v[20:21], v[18:19]
	v_fma_f64 v[18:19], v[34:35], 0.5, v[22:23]
	v_fma_f64 v[34:35], v[45:46], s[10:11], v[38:39]
	v_mul_lo_u16_e32 v47, 6, v41
	v_add_f64 v[20:21], v[2:3], -v[4:5]
	v_add_f64 v[8:9], v[0:1], -v[6:7]
	;; [unrolled: 1-line block ×6, first 2 shown]
	s_barrier
	s_and_saveexec_b64 s[2:3], vcc
	s_cbranch_execz .LBB0_7
; %bb.6:
	v_add_f64 v[32:33], v[32:33], v[34:35]
	v_add_f64 v[36:37], v[30:31], v[16:17]
	;; [unrolled: 1-line block ×6, first 2 shown]
	v_add_lshl_u32 v0, v42, v47, 4
	ds_write_b128 v0, v[34:37]
	ds_write_b128 v0, v[16:19] offset:16
	ds_write_b128 v0, v[30:33] offset:32
	;; [unrolled: 1-line block ×5, first 2 shown]
.LBB0_7:
	s_or_b64 exec, exec, s[2:3]
	s_movk_i32 s14, 0xab
	v_mul_lo_u16_sdwa v0, v41, s14 dst_sel:DWORD dst_unused:UNUSED_PAD src0_sel:BYTE_0 src1_sel:DWORD
	v_lshrrev_b16_e32 v45, 10, v0
	v_mul_lo_u16_e32 v0, 6, v45
	v_sub_u16_e32 v50, v41, v0
	v_lshlrev_b16_e32 v0, 1, v50
	v_and_b32_e32 v0, 0xfe, v0
	v_lshlrev_b32_e32 v12, 4, v0
	s_load_dwordx4 s[0:3], s[0:1], 0x0
	s_waitcnt lgkmcnt(0)
	s_barrier
	global_load_dwordx4 v[4:7], v12, s[8:9]
	global_load_dwordx4 v[0:3], v12, s[8:9] offset:16
	v_add_lshl_u32 v46, v42, v41, 4
	ds_read_b128 v[12:15], v46 offset:288
	ds_read_b128 v[16:19], v46 offset:576
	v_mad_legacy_u16 v45, v45, 18, v50
	v_lshlrev_b32_e32 v51, 5, v41
	s_waitcnt vmcnt(1) lgkmcnt(1)
	v_mul_f64 v[28:29], v[14:15], v[6:7]
	s_waitcnt vmcnt(0) lgkmcnt(0)
	v_mul_f64 v[30:31], v[18:19], v[2:3]
	v_mul_f64 v[32:33], v[12:13], v[6:7]
	;; [unrolled: 1-line block ×3, first 2 shown]
	v_fma_f64 v[28:29], v[12:13], v[4:5], -v[28:29]
	v_fma_f64 v[16:17], v[16:17], v[0:1], -v[30:31]
	v_fma_f64 v[30:31], v[14:15], v[4:5], v[32:33]
	v_fma_f64 v[18:19], v[18:19], v[0:1], v[34:35]
	ds_read_b128 v[12:15], v46
	s_waitcnt lgkmcnt(0)
	s_barrier
	v_add_f64 v[32:33], v[28:29], v[16:17]
	v_add_f64 v[36:37], v[12:13], v[28:29]
	;; [unrolled: 1-line block ×3, first 2 shown]
	v_add_f64 v[38:39], v[30:31], -v[18:19]
	v_add_f64 v[30:31], v[14:15], v[30:31]
	v_add_f64 v[48:49], v[28:29], -v[16:17]
	v_fma_f64 v[32:33], v[32:33], -0.5, v[12:13]
	v_add_f64 v[12:13], v[36:37], v[16:17]
	v_fma_f64 v[34:35], v[34:35], -0.5, v[14:15]
	v_add_f64 v[14:15], v[30:31], v[18:19]
	v_fma_f64 v[16:17], v[38:39], s[4:5], v[32:33]
	v_fma_f64 v[28:29], v[38:39], s[10:11], v[32:33]
	;; [unrolled: 1-line block ×4, first 2 shown]
	v_and_b32_e32 v32, 0xff, v45
	v_add_lshl_u32 v48, v42, v32, 4
	ds_write_b128 v48, v[12:15]
	ds_write_b128 v48, v[16:19] offset:96
	ds_write_b128 v48, v[28:31] offset:192
	s_waitcnt lgkmcnt(0)
	s_barrier
	global_load_dwordx4 v[16:19], v51, s[8:9] offset:192
	global_load_dwordx4 v[12:15], v51, s[8:9] offset:208
	ds_read_b128 v[28:31], v46 offset:288
	ds_read_b128 v[32:35], v46 offset:576
	v_lshl_add_u32 v45, v41, 4, v44
	s_waitcnt vmcnt(1) lgkmcnt(1)
	v_mul_f64 v[36:37], v[30:31], v[18:19]
	s_waitcnt vmcnt(0) lgkmcnt(0)
	v_mul_f64 v[38:39], v[34:35], v[14:15]
	v_mul_f64 v[49:50], v[28:29], v[18:19]
	;; [unrolled: 1-line block ×3, first 2 shown]
	v_fma_f64 v[36:37], v[28:29], v[16:17], -v[36:37]
	v_fma_f64 v[32:33], v[32:33], v[12:13], -v[38:39]
	v_fma_f64 v[38:39], v[30:31], v[16:17], v[49:50]
	v_fma_f64 v[34:35], v[34:35], v[12:13], v[51:52]
	ds_read_b128 v[28:31], v46
	v_add_f64 v[49:50], v[36:37], v[32:33]
	s_waitcnt lgkmcnt(0)
	v_add_f64 v[53:54], v[28:29], v[36:37]
	v_add_f64 v[51:52], v[38:39], v[34:35]
	v_add_f64 v[55:56], v[38:39], -v[34:35]
	v_add_f64 v[38:39], v[30:31], v[38:39]
	v_add_f64 v[57:58], v[36:37], -v[32:33]
	v_fma_f64 v[49:50], v[49:50], -0.5, v[28:29]
	v_add_f64 v[28:29], v[53:54], v[32:33]
	v_fma_f64 v[51:52], v[51:52], -0.5, v[30:31]
	v_add_f64 v[30:31], v[38:39], v[34:35]
	v_fma_f64 v[32:33], v[55:56], s[4:5], v[49:50]
	v_fma_f64 v[36:37], v[55:56], s[10:11], v[49:50]
	;; [unrolled: 1-line block ×4, first 2 shown]
	ds_write_b128 v45, v[28:31]
	ds_write_b128 v45, v[32:35] offset:288
	ds_write_b128 v45, v[36:39] offset:576
	s_waitcnt lgkmcnt(0)
	s_barrier
	s_and_saveexec_b64 s[4:5], vcc
	s_cbranch_execz .LBB0_9
; %bb.8:
	global_load_dwordx4 v[53:56], v43, s[12:13] offset:864
	ds_read_b128 v[49:52], v45
	s_add_u32 s8, s12, 0x360
	s_addc_u32 s9, s13, 0
	s_waitcnt vmcnt(0) lgkmcnt(0)
	v_mul_f64 v[57:58], v[51:52], v[55:56]
	v_fma_f64 v[57:58], v[49:50], v[53:54], -v[57:58]
	v_mul_f64 v[49:50], v[49:50], v[55:56]
	v_fma_f64 v[59:60], v[51:52], v[53:54], v[49:50]
	global_load_dwordx4 v[53:56], v43, s[8:9] offset:144
	ds_read_b128 v[49:52], v45 offset:144
	ds_write_b128 v45, v[57:60]
	s_waitcnt vmcnt(0) lgkmcnt(1)
	v_mul_f64 v[57:58], v[51:52], v[55:56]
	v_fma_f64 v[57:58], v[49:50], v[53:54], -v[57:58]
	v_mul_f64 v[49:50], v[49:50], v[55:56]
	v_fma_f64 v[59:60], v[51:52], v[53:54], v[49:50]
	global_load_dwordx4 v[53:56], v43, s[8:9] offset:288
	ds_read_b128 v[49:52], v45 offset:288
	ds_write_b128 v45, v[57:60] offset:144
	s_waitcnt vmcnt(0) lgkmcnt(1)
	v_mul_f64 v[57:58], v[51:52], v[55:56]
	v_fma_f64 v[57:58], v[49:50], v[53:54], -v[57:58]
	v_mul_f64 v[49:50], v[49:50], v[55:56]
	v_fma_f64 v[59:60], v[51:52], v[53:54], v[49:50]
	global_load_dwordx4 v[53:56], v43, s[8:9] offset:432
	ds_read_b128 v[49:52], v45 offset:432
	ds_write_b128 v45, v[57:60] offset:288
	;; [unrolled: 8-line block ×4, first 2 shown]
	s_waitcnt vmcnt(0) lgkmcnt(1)
	v_mul_f64 v[57:58], v[51:52], v[55:56]
	v_fma_f64 v[57:58], v[49:50], v[53:54], -v[57:58]
	v_mul_f64 v[49:50], v[49:50], v[55:56]
	v_fma_f64 v[59:60], v[51:52], v[53:54], v[49:50]
	ds_write_b128 v45, v[57:60] offset:720
.LBB0_9:
	s_or_b64 exec, exec, s[4:5]
	s_waitcnt lgkmcnt(0)
	s_barrier
	s_and_saveexec_b64 s[4:5], vcc
	s_cbranch_execz .LBB0_11
; %bb.10:
	ds_read_b128 v[28:31], v45
	ds_read_b128 v[32:35], v45 offset:144
	ds_read_b128 v[36:39], v45 offset:288
	;; [unrolled: 1-line block ×5, first 2 shown]
.LBB0_11:
	s_or_b64 exec, exec, s[4:5]
	s_waitcnt lgkmcnt(0)
	s_barrier
	s_and_saveexec_b64 s[4:5], vcc
	s_cbranch_execz .LBB0_13
; %bb.12:
	v_add_f64 v[49:50], v[22:23], v[26:27]
	v_add_f64 v[51:52], v[38:39], v[10:11]
	;; [unrolled: 1-line block ×3, first 2 shown]
	v_add_f64 v[59:60], v[20:21], -v[24:25]
	s_mov_b32 s8, 0xe8584caa
	s_mov_b32 s9, 0xbfebb67a
	s_mov_b32 s11, 0x3febb67a
	s_mov_b32 s10, s8
	v_fma_f64 v[49:50], v[49:50], -0.5, v[34:35]
	v_add_f64 v[53:54], v[36:37], -v[8:9]
	v_add_f64 v[57:58], v[22:23], -v[26:27]
	v_add_f64 v[61:62], v[30:31], v[38:39]
	v_add_f64 v[22:23], v[34:35], v[22:23]
	;; [unrolled: 1-line block ×3, first 2 shown]
	v_fma_f64 v[55:56], v[55:56], -0.5, v[32:33]
	v_fma_f64 v[30:31], v[51:52], -0.5, v[30:31]
	v_fma_f64 v[63:64], v[59:60], s[8:9], v[49:50]
	v_fma_f64 v[49:50], v[59:60], s[10:11], v[49:50]
	v_add_f64 v[36:37], v[28:29], v[36:37]
	v_add_f64 v[20:21], v[32:33], v[20:21]
	v_add_f64 v[38:39], v[38:39], -v[10:11]
	v_add_f64 v[32:33], v[61:62], v[10:11]
	v_fma_f64 v[10:11], v[57:58], s[10:11], v[55:56]
	v_fma_f64 v[51:52], v[57:58], s[8:9], v[55:56]
	v_add_f64 v[59:60], v[22:23], v[26:27]
	v_mul_f64 v[57:58], v[49:50], 0.5
	v_fma_f64 v[22:23], v[34:35], -0.5, v[28:29]
	v_fma_f64 v[28:29], v[53:54], s[8:9], v[30:31]
	v_fma_f64 v[34:35], v[53:54], s[10:11], v[30:31]
	v_mul_f64 v[30:31], v[49:50], s[8:9]
	v_mul_f64 v[55:56], v[63:64], -0.5
	v_mul_f64 v[26:27], v[63:64], s[8:9]
	v_add_f64 v[8:9], v[36:37], v[8:9]
	v_add_f64 v[20:21], v[20:21], v[24:25]
	v_fma_f64 v[53:54], v[51:52], s[10:11], v[57:58]
	v_fma_f64 v[57:58], v[38:39], s[8:9], v[22:23]
	v_lshl_add_u32 v44, v47, 4, v44
	v_fma_f64 v[51:52], v[51:52], 0.5, v[30:31]
	v_fma_f64 v[49:50], v[10:11], s[10:11], v[55:56]
	v_fma_f64 v[55:56], v[38:39], s[10:11], v[22:23]
	v_fma_f64 v[61:62], v[10:11], -0.5, v[26:27]
	v_add_f64 v[38:39], v[32:33], v[59:60]
	v_add_f64 v[36:37], v[8:9], v[20:21]
	v_add_f64 v[22:23], v[34:35], -v[53:54]
	v_add_f64 v[26:27], v[32:33], -v[59:60]
	v_add_f64 v[34:35], v[34:35], v[53:54]
	v_add_f64 v[32:33], v[57:58], v[51:52]
	v_add_f64 v[10:11], v[28:29], -v[49:50]
	v_add_f64 v[30:31], v[28:29], v[49:50]
	v_add_f64 v[28:29], v[55:56], v[61:62]
	v_add_f64 v[24:25], v[8:9], -v[20:21]
	v_add_f64 v[20:21], v[57:58], -v[51:52]
	;; [unrolled: 1-line block ×3, first 2 shown]
	ds_write_b128 v44, v[36:39]
	ds_write_b128 v44, v[32:35] offset:16
	ds_write_b128 v44, v[28:31] offset:32
	;; [unrolled: 1-line block ×5, first 2 shown]
.LBB0_13:
	s_or_b64 exec, exec, s[4:5]
	s_waitcnt lgkmcnt(0)
	s_barrier
	ds_read_b128 v[8:11], v46 offset:288
	ds_read_b128 v[20:23], v46 offset:576
	s_mov_b32 s4, 0xe8584caa
	s_mov_b32 s5, 0xbfebb67a
	;; [unrolled: 1-line block ×3, first 2 shown]
	s_waitcnt lgkmcnt(1)
	v_mul_f64 v[24:25], v[6:7], v[10:11]
	v_mul_f64 v[6:7], v[6:7], v[8:9]
	s_waitcnt lgkmcnt(0)
	v_mul_f64 v[26:27], v[2:3], v[22:23]
	v_mul_f64 v[2:3], v[2:3], v[20:21]
	s_mov_b32 s8, s4
	v_fma_f64 v[8:9], v[4:5], v[8:9], v[24:25]
	v_fma_f64 v[4:5], v[4:5], v[10:11], -v[6:7]
	v_fma_f64 v[6:7], v[0:1], v[20:21], v[26:27]
	v_fma_f64 v[10:11], v[0:1], v[22:23], -v[2:3]
	ds_read_b128 v[0:3], v46
	s_waitcnt lgkmcnt(0)
	s_barrier
	v_add_f64 v[24:25], v[0:1], v[8:9]
	v_add_f64 v[20:21], v[8:9], v[6:7]
	;; [unrolled: 1-line block ×3, first 2 shown]
	v_add_f64 v[26:27], v[4:5], -v[10:11]
	v_add_f64 v[4:5], v[2:3], v[4:5]
	v_add_f64 v[28:29], v[8:9], -v[6:7]
	v_fma_f64 v[8:9], v[20:21], -0.5, v[0:1]
	v_fma_f64 v[20:21], v[22:23], -0.5, v[2:3]
	v_add_f64 v[0:1], v[24:25], v[6:7]
	v_add_f64 v[2:3], v[4:5], v[10:11]
	v_fma_f64 v[4:5], v[26:27], s[4:5], v[8:9]
	v_fma_f64 v[6:7], v[28:29], s[8:9], v[20:21]
	;; [unrolled: 1-line block ×4, first 2 shown]
	ds_write_b128 v48, v[0:3]
	ds_write_b128 v48, v[4:7] offset:96
	ds_write_b128 v48, v[8:11] offset:192
	s_waitcnt lgkmcnt(0)
	s_barrier
	ds_read_b128 v[0:3], v46 offset:288
	ds_read_b128 v[4:7], v46 offset:576
	s_waitcnt lgkmcnt(1)
	v_mul_f64 v[8:9], v[18:19], v[2:3]
	s_waitcnt lgkmcnt(0)
	v_mul_f64 v[10:11], v[14:15], v[6:7]
	v_mul_f64 v[18:19], v[18:19], v[0:1]
	;; [unrolled: 1-line block ×3, first 2 shown]
	v_fma_f64 v[8:9], v[16:17], v[0:1], v[8:9]
	v_fma_f64 v[4:5], v[12:13], v[4:5], v[10:11]
	v_fma_f64 v[10:11], v[16:17], v[2:3], -v[18:19]
	v_fma_f64 v[6:7], v[12:13], v[6:7], -v[14:15]
	ds_read_b128 v[0:3], v46
	v_add_f64 v[12:13], v[8:9], v[4:5]
	s_waitcnt lgkmcnt(0)
	v_add_f64 v[16:17], v[0:1], v[8:9]
	v_add_f64 v[14:15], v[10:11], v[6:7]
	v_add_f64 v[18:19], v[10:11], -v[6:7]
	v_add_f64 v[10:11], v[2:3], v[10:11]
	v_add_f64 v[20:21], v[8:9], -v[4:5]
	v_fma_f64 v[12:13], v[12:13], -0.5, v[0:1]
	v_add_f64 v[0:1], v[16:17], v[4:5]
	v_fma_f64 v[14:15], v[14:15], -0.5, v[2:3]
	v_add_f64 v[2:3], v[10:11], v[6:7]
	v_fma_f64 v[4:5], v[18:19], s[4:5], v[12:13]
	v_fma_f64 v[8:9], v[18:19], s[8:9], v[12:13]
	;; [unrolled: 1-line block ×4, first 2 shown]
	ds_write_b128 v45, v[0:3]
	ds_write_b128 v45, v[4:7] offset:288
	ds_write_b128 v45, v[8:11] offset:576
	s_waitcnt lgkmcnt(0)
	s_barrier
	s_and_b64 exec, exec, vcc
	s_cbranch_execz .LBB0_15
; %bb.14:
	global_load_dwordx4 v[0:3], v43, s[12:13]
	global_load_dwordx4 v[4:7], v43, s[12:13] offset:144
	global_load_dwordx4 v[8:11], v43, s[12:13] offset:288
	;; [unrolled: 1-line block ×5, first 2 shown]
	v_mad_u64_u32 v[50:51], s[4:5], s2, v40, 0
	v_mad_u64_u32 v[52:53], s[8:9], s0, v41, 0
	v_mov_b32_e32 v56, s7
	s_mul_i32 s2, s1, 0x90
	s_mul_hi_u32 s7, s0, 0x90
	s_add_i32 s7, s7, s2
	v_mad_u64_u32 v[54:55], s[2:3], s3, v40, v[51:52]
	s_mul_i32 s8, s0, 0x90
	v_lshl_add_u32 v46, v42, 4, v43
	v_mad_u64_u32 v[40:41], s[0:1], s1, v41, v[53:54]
	v_mov_b32_e32 v51, v54
	ds_read_b128 v[24:27], v45
	ds_read_b128 v[28:31], v46 offset:144
	v_mov_b32_e32 v53, v40
	v_lshlrev_b64 v[40:41], 4, v[50:51]
	v_lshlrev_b64 v[50:51], 4, v[52:53]
	v_add_co_u32_e32 v40, vcc, s6, v40
	v_addc_co_u32_e32 v41, vcc, v56, v41, vcc
	v_add_co_u32_e32 v40, vcc, v40, v50
	v_addc_co_u32_e32 v41, vcc, v41, v51, vcc
	v_mov_b32_e32 v57, s7
	v_add_co_u32_e32 v50, vcc, s8, v40
	v_addc_co_u32_e32 v51, vcc, v41, v57, vcc
	ds_read_b128 v[32:35], v46 offset:288
	ds_read_b128 v[36:39], v46 offset:432
	ds_read_b128 v[42:45], v46 offset:576
	ds_read_b128 v[46:49], v46 offset:720
	v_mov_b32_e32 v58, s7
	v_add_co_u32_e32 v52, vcc, s8, v50
	v_addc_co_u32_e32 v53, vcc, v51, v58, vcc
	v_mov_b32_e32 v59, s7
	v_add_co_u32_e32 v54, vcc, s8, v52
	v_addc_co_u32_e32 v55, vcc, v53, v59, vcc
	s_mov_b32 s4, 0xbda12f68
	s_mov_b32 s5, 0x3f92f684
	v_mov_b32_e32 v68, s7
	v_mov_b32_e32 v69, s7
	s_waitcnt vmcnt(5) lgkmcnt(5)
	v_mul_f64 v[56:57], v[26:27], v[2:3]
	v_mul_f64 v[2:3], v[24:25], v[2:3]
	s_waitcnt vmcnt(4) lgkmcnt(4)
	v_mul_f64 v[58:59], v[30:31], v[6:7]
	v_mul_f64 v[6:7], v[28:29], v[6:7]
	;; [unrolled: 3-line block ×4, first 2 shown]
	v_fma_f64 v[24:25], v[24:25], v[0:1], v[56:57]
	v_fma_f64 v[2:3], v[0:1], v[26:27], -v[2:3]
	v_mul_f64 v[0:1], v[46:47], v[22:23]
	v_mul_f64 v[14:15], v[36:37], v[14:15]
	;; [unrolled: 1-line block ×4, first 2 shown]
	v_fma_f64 v[22:23], v[28:29], v[4:5], v[58:59]
	v_fma_f64 v[6:7], v[4:5], v[30:31], -v[6:7]
	v_fma_f64 v[26:27], v[32:33], v[8:9], v[60:61]
	v_fma_f64 v[10:11], v[8:9], v[34:35], -v[10:11]
	;; [unrolled: 2-line block ×5, first 2 shown]
	v_mul_f64 v[0:1], v[24:25], s[4:5]
	v_mul_f64 v[2:3], v[2:3], s[4:5]
	;; [unrolled: 1-line block ×12, first 2 shown]
	v_add_co_u32_e32 v24, vcc, s8, v54
	v_addc_co_u32_e32 v25, vcc, v55, v68, vcc
	global_store_dwordx4 v[40:41], v[0:3], off
	global_store_dwordx4 v[50:51], v[4:7], off
	;; [unrolled: 1-line block ×5, first 2 shown]
	v_add_co_u32_e32 v0, vcc, s8, v24
	v_addc_co_u32_e32 v1, vcc, v25, v69, vcc
	global_store_dwordx4 v[0:1], v[20:23], off
.LBB0_15:
	s_endpgm
	.section	.rodata,"a",@progbits
	.p2align	6, 0x0
	.amdhsa_kernel bluestein_single_back_len54_dim1_dp_op_CI_CI
		.amdhsa_group_segment_fixed_size 12096
		.amdhsa_private_segment_fixed_size 0
		.amdhsa_kernarg_size 104
		.amdhsa_user_sgpr_count 6
		.amdhsa_user_sgpr_private_segment_buffer 1
		.amdhsa_user_sgpr_dispatch_ptr 0
		.amdhsa_user_sgpr_queue_ptr 0
		.amdhsa_user_sgpr_kernarg_segment_ptr 1
		.amdhsa_user_sgpr_dispatch_id 0
		.amdhsa_user_sgpr_flat_scratch_init 0
		.amdhsa_user_sgpr_private_segment_size 0
		.amdhsa_uses_dynamic_stack 0
		.amdhsa_system_sgpr_private_segment_wavefront_offset 0
		.amdhsa_system_sgpr_workgroup_id_x 1
		.amdhsa_system_sgpr_workgroup_id_y 0
		.amdhsa_system_sgpr_workgroup_id_z 0
		.amdhsa_system_sgpr_workgroup_info 0
		.amdhsa_system_vgpr_workitem_id 0
		.amdhsa_next_free_vgpr 70
		.amdhsa_next_free_sgpr 16
		.amdhsa_reserve_vcc 1
		.amdhsa_reserve_flat_scratch 0
		.amdhsa_float_round_mode_32 0
		.amdhsa_float_round_mode_16_64 0
		.amdhsa_float_denorm_mode_32 3
		.amdhsa_float_denorm_mode_16_64 3
		.amdhsa_dx10_clamp 1
		.amdhsa_ieee_mode 1
		.amdhsa_fp16_overflow 0
		.amdhsa_exception_fp_ieee_invalid_op 0
		.amdhsa_exception_fp_denorm_src 0
		.amdhsa_exception_fp_ieee_div_zero 0
		.amdhsa_exception_fp_ieee_overflow 0
		.amdhsa_exception_fp_ieee_underflow 0
		.amdhsa_exception_fp_ieee_inexact 0
		.amdhsa_exception_int_div_zero 0
	.end_amdhsa_kernel
	.text
.Lfunc_end0:
	.size	bluestein_single_back_len54_dim1_dp_op_CI_CI, .Lfunc_end0-bluestein_single_back_len54_dim1_dp_op_CI_CI
                                        ; -- End function
	.section	.AMDGPU.csdata,"",@progbits
; Kernel info:
; codeLenInByte = 4088
; NumSgprs: 20
; NumVgprs: 70
; ScratchSize: 0
; MemoryBound: 0
; FloatMode: 240
; IeeeMode: 1
; LDSByteSize: 12096 bytes/workgroup (compile time only)
; SGPRBlocks: 2
; VGPRBlocks: 17
; NumSGPRsForWavesPerEU: 20
; NumVGPRsForWavesPerEU: 70
; Occupancy: 3
; WaveLimiterHint : 1
; COMPUTE_PGM_RSRC2:SCRATCH_EN: 0
; COMPUTE_PGM_RSRC2:USER_SGPR: 6
; COMPUTE_PGM_RSRC2:TRAP_HANDLER: 0
; COMPUTE_PGM_RSRC2:TGID_X_EN: 1
; COMPUTE_PGM_RSRC2:TGID_Y_EN: 0
; COMPUTE_PGM_RSRC2:TGID_Z_EN: 0
; COMPUTE_PGM_RSRC2:TIDIG_COMP_CNT: 0
	.type	__hip_cuid_7b0fbcd7ee207005,@object ; @__hip_cuid_7b0fbcd7ee207005
	.section	.bss,"aw",@nobits
	.globl	__hip_cuid_7b0fbcd7ee207005
__hip_cuid_7b0fbcd7ee207005:
	.byte	0                               ; 0x0
	.size	__hip_cuid_7b0fbcd7ee207005, 1

	.ident	"AMD clang version 19.0.0git (https://github.com/RadeonOpenCompute/llvm-project roc-6.4.0 25133 c7fe45cf4b819c5991fe208aaa96edf142730f1d)"
	.section	".note.GNU-stack","",@progbits
	.addrsig
	.addrsig_sym __hip_cuid_7b0fbcd7ee207005
	.amdgpu_metadata
---
amdhsa.kernels:
  - .args:
      - .actual_access:  read_only
        .address_space:  global
        .offset:         0
        .size:           8
        .value_kind:     global_buffer
      - .actual_access:  read_only
        .address_space:  global
        .offset:         8
        .size:           8
        .value_kind:     global_buffer
      - .actual_access:  read_only
        .address_space:  global
        .offset:         16
        .size:           8
        .value_kind:     global_buffer
      - .actual_access:  read_only
        .address_space:  global
        .offset:         24
        .size:           8
        .value_kind:     global_buffer
      - .actual_access:  read_only
        .address_space:  global
        .offset:         32
        .size:           8
        .value_kind:     global_buffer
      - .offset:         40
        .size:           8
        .value_kind:     by_value
      - .address_space:  global
        .offset:         48
        .size:           8
        .value_kind:     global_buffer
      - .address_space:  global
        .offset:         56
        .size:           8
        .value_kind:     global_buffer
      - .address_space:  global
        .offset:         64
        .size:           8
        .value_kind:     global_buffer
      - .address_space:  global
        .offset:         72
        .size:           8
        .value_kind:     global_buffer
      - .offset:         80
        .size:           4
        .value_kind:     by_value
      - .address_space:  global
        .offset:         88
        .size:           8
        .value_kind:     global_buffer
      - .address_space:  global
        .offset:         96
        .size:           8
        .value_kind:     global_buffer
    .group_segment_fixed_size: 12096
    .kernarg_segment_align: 8
    .kernarg_segment_size: 104
    .language:       OpenCL C
    .language_version:
      - 2
      - 0
    .max_flat_workgroup_size: 252
    .name:           bluestein_single_back_len54_dim1_dp_op_CI_CI
    .private_segment_fixed_size: 0
    .sgpr_count:     20
    .sgpr_spill_count: 0
    .symbol:         bluestein_single_back_len54_dim1_dp_op_CI_CI.kd
    .uniform_work_group_size: 1
    .uses_dynamic_stack: false
    .vgpr_count:     70
    .vgpr_spill_count: 0
    .wavefront_size: 64
amdhsa.target:   amdgcn-amd-amdhsa--gfx906
amdhsa.version:
  - 1
  - 2
...

	.end_amdgpu_metadata
